;; amdgpu-corpus repo=ROCm/rocFFT kind=compiled arch=gfx906 opt=O3
	.text
	.amdgcn_target "amdgcn-amd-amdhsa--gfx906"
	.amdhsa_code_object_version 6
	.protected	fft_rtc_back_len240_factors_4_5_3_4_wgs_240_tpt_20_dim3_sp_ip_CI_sbcc_twdbase8_2step_dirReg_intrinsicReadWrite ; -- Begin function fft_rtc_back_len240_factors_4_5_3_4_wgs_240_tpt_20_dim3_sp_ip_CI_sbcc_twdbase8_2step_dirReg_intrinsicReadWrite
	.globl	fft_rtc_back_len240_factors_4_5_3_4_wgs_240_tpt_20_dim3_sp_ip_CI_sbcc_twdbase8_2step_dirReg_intrinsicReadWrite
	.p2align	8
	.type	fft_rtc_back_len240_factors_4_5_3_4_wgs_240_tpt_20_dim3_sp_ip_CI_sbcc_twdbase8_2step_dirReg_intrinsicReadWrite,@function
fft_rtc_back_len240_factors_4_5_3_4_wgs_240_tpt_20_dim3_sp_ip_CI_sbcc_twdbase8_2step_dirReg_intrinsicReadWrite: ; @fft_rtc_back_len240_factors_4_5_3_4_wgs_240_tpt_20_dim3_sp_ip_CI_sbcc_twdbase8_2step_dirReg_intrinsicReadWrite
; %bb.0:
	s_load_dwordx4 s[0:3], s[4:5], 0x10
	s_mov_b32 s7, 0
	s_mov_b64 s[20:21], 0
	s_waitcnt lgkmcnt(0)
	s_load_dwordx2 s[10:11], s[0:1], 0x8
	s_waitcnt lgkmcnt(0)
	s_add_u32 s8, s10, -1
	s_addc_u32 s9, s11, -1
	s_add_u32 s12, 0, 0x55540000
	s_addc_u32 s13, 0, 0x55
	s_mul_hi_u32 s15, s12, -12
	s_add_i32 s13, s13, 0x15555500
	s_sub_i32 s15, s15, s12
	s_mul_i32 s18, s13, -12
	s_mul_i32 s14, s12, -12
	s_add_i32 s15, s15, s18
	s_mul_hi_u32 s16, s13, s14
	s_mul_i32 s17, s13, s14
	s_mul_i32 s19, s12, s15
	s_mul_hi_u32 s14, s12, s14
	s_mul_hi_u32 s18, s12, s15
	s_add_u32 s14, s14, s19
	s_addc_u32 s18, 0, s18
	s_add_u32 s14, s14, s17
	s_mul_hi_u32 s19, s13, s15
	s_addc_u32 s14, s18, s16
	s_addc_u32 s16, s19, 0
	s_mul_i32 s15, s13, s15
	s_add_u32 s14, s14, s15
	v_mov_b32_e32 v1, s14
	s_addc_u32 s15, 0, s16
	v_add_co_u32_e32 v1, vcc, s12, v1
	s_cmp_lg_u64 vcc, 0
	s_addc_u32 s12, s13, s15
	v_readfirstlane_b32 s15, v1
	s_mul_i32 s14, s8, s12
	s_mul_hi_u32 s16, s8, s15
	s_mul_hi_u32 s13, s8, s12
	s_add_u32 s14, s16, s14
	s_addc_u32 s13, 0, s13
	s_mul_hi_u32 s17, s9, s15
	s_mul_i32 s15, s9, s15
	s_add_u32 s14, s14, s15
	s_mul_hi_u32 s16, s9, s12
	s_addc_u32 s13, s13, s17
	s_addc_u32 s14, s16, 0
	s_mul_i32 s12, s9, s12
	s_add_u32 s12, s13, s12
	s_addc_u32 s13, 0, s14
	s_add_u32 s14, s12, 1
	s_addc_u32 s15, s13, 0
	s_add_u32 s16, s12, 2
	s_mul_i32 s18, s13, 12
	s_mul_hi_u32 s19, s12, 12
	s_addc_u32 s17, s13, 0
	s_add_i32 s19, s19, s18
	s_mul_i32 s18, s12, 12
	v_mov_b32_e32 v1, s18
	v_sub_co_u32_e32 v1, vcc, s8, v1
	s_cmp_lg_u64 vcc, 0
	s_subb_u32 s8, s9, s19
	v_subrev_co_u32_e32 v2, vcc, 12, v1
	s_cmp_lg_u64 vcc, 0
	s_subb_u32 s9, s8, 0
	v_readfirstlane_b32 s18, v2
	s_cmp_gt_u32 s18, 11
	s_cselect_b32 s18, -1, 0
	s_cmp_eq_u32 s9, 0
	s_cselect_b32 s9, s18, -1
	s_cmp_lg_u32 s9, 0
	s_cselect_b32 s9, s16, s14
	s_cselect_b32 s14, s17, s15
	v_readfirstlane_b32 s15, v1
	s_cmp_gt_u32 s15, 11
	s_cselect_b32 s15, -1, 0
	s_cmp_eq_u32 s8, 0
	s_cselect_b32 s8, s15, -1
	s_cmp_lg_u32 s8, 0
	s_cselect_b32 s9, s9, s12
	s_cselect_b32 s8, s14, s13
	s_add_u32 s18, s9, 1
	s_addc_u32 s19, s8, 0
	v_mov_b32_e32 v1, s18
	v_mov_b32_e32 v2, s19
	v_cmp_lt_u64_e32 vcc, s[6:7], v[1:2]
	s_cbranch_vccnz .LBB0_2
; %bb.1:
	v_cvt_f32_u32_e32 v1, s18
	s_sub_i32 s8, 0, s18
	s_mov_b32 s21, s7
	v_rcp_iflag_f32_e32 v1, v1
	v_mul_f32_e32 v1, 0x4f7ffffe, v1
	v_cvt_u32_f32_e32 v1, v1
	v_readfirstlane_b32 s9, v1
	s_mul_i32 s8, s8, s9
	s_mul_hi_u32 s8, s9, s8
	s_add_i32 s9, s9, s8
	s_mul_hi_u32 s8, s6, s9
	s_mul_i32 s12, s8, s18
	s_sub_i32 s12, s6, s12
	s_add_i32 s9, s8, 1
	s_sub_i32 s13, s12, s18
	s_cmp_ge_u32 s12, s18
	s_cselect_b32 s8, s9, s8
	s_cselect_b32 s12, s13, s12
	s_add_i32 s9, s8, 1
	s_cmp_ge_u32 s12, s18
	s_cselect_b32 s20, s9, s8
.LBB0_2:
	s_load_dwordx2 s[22:23], s[0:1], 0x10
	s_load_dwordx2 s[8:9], s[4:5], 0x50
	s_load_dwordx4 s[12:15], s[2:3], 0x0
	s_mov_b64 s[0:1], s[20:21]
	s_waitcnt lgkmcnt(0)
	v_mov_b32_e32 v1, s22
	v_mov_b32_e32 v2, s23
	v_cmp_lt_u64_e32 vcc, s[20:21], v[1:2]
	s_cbranch_vccnz .LBB0_4
; %bb.3:
	v_cvt_f32_u32_e32 v1, s22
	s_sub_i32 s0, 0, s22
	v_rcp_iflag_f32_e32 v1, v1
	v_mul_f32_e32 v1, 0x4f7ffffe, v1
	v_cvt_u32_f32_e32 v1, v1
	v_readfirstlane_b32 s1, v1
	s_mul_i32 s0, s0, s1
	s_mul_hi_u32 s0, s1, s0
	s_add_i32 s1, s1, s0
	s_mul_hi_u32 s0, s20, s1
	s_mul_i32 s0, s0, s22
	s_sub_i32 s0, s20, s0
	s_sub_i32 s1, s0, s22
	s_cmp_ge_u32 s0, s22
	s_cselect_b32 s0, s1, s0
	s_sub_i32 s1, s0, s22
	s_cmp_ge_u32 s0, s22
	s_cselect_b32 s0, s1, s0
.LBB0_4:
	s_mul_i32 s1, s22, s19
	s_mul_hi_u32 s13, s22, s18
	s_add_i32 s1, s13, s1
	s_mul_i32 s13, s23, s18
	s_mul_i32 s24, s22, s18
	s_load_dwordx2 s[16:17], s[4:5], 0x0
	s_add_i32 s25, s1, s13
	s_load_dwordx2 s[22:23], s[2:3], 0x10
	v_mov_b32_e32 v1, s24
	v_mov_b32_e32 v2, s25
	v_cmp_lt_u64_e32 vcc, s[6:7], v[1:2]
	s_mov_b64 s[26:27], 0
	s_cbranch_vccnz .LBB0_6
; %bb.5:
	v_cvt_f32_u32_e32 v1, s24
	s_sub_i32 s1, 0, s24
	v_rcp_iflag_f32_e32 v1, v1
	v_mul_f32_e32 v1, 0x4f7ffffe, v1
	v_cvt_u32_f32_e32 v1, v1
	v_readfirstlane_b32 s7, v1
	s_mul_i32 s1, s1, s7
	s_mul_hi_u32 s1, s7, s1
	s_add_i32 s7, s7, s1
	s_mul_hi_u32 s1, s6, s7
	s_mul_i32 s13, s1, s24
	s_sub_i32 s13, s6, s13
	s_add_i32 s7, s1, 1
	s_sub_i32 s15, s13, s24
	s_cmp_ge_u32 s13, s24
	s_cselect_b32 s1, s7, s1
	s_cselect_b32 s13, s15, s13
	s_add_i32 s7, s1, 1
	s_cmp_ge_u32 s13, s24
	s_cselect_b32 s26, s7, s1
.LBB0_6:
	s_mul_i32 s1, s20, s19
	s_mul_hi_u32 s7, s20, s18
	s_load_dword s2, s[2:3], 0x18
	s_add_i32 s7, s7, s1
	s_mul_i32 s1, s20, s18
	s_sub_u32 s1, s6, s1
	v_mul_u32_u24_e32 v1, 0x1556, v0
	s_subb_u32 s6, 0, s7
	s_mul_hi_u32 s7, s1, 12
	s_mul_i32 s1, s1, 12
	v_lshrrev_b32_e32 v43, 16, v1
	s_mul_i32 s6, s6, 12
	s_mul_i32 s3, s14, s1
	s_waitcnt lgkmcnt(0)
	s_mul_i32 s0, s22, s0
	v_mul_lo_u16_e32 v1, 12, v43
	s_add_i32 s6, s7, s6
	s_add_i32 s0, s0, s3
	s_mul_i32 s2, s2, s26
	v_sub_u16_e32 v25, v0, v1
	s_add_i32 s7, s2, s0
	v_mov_b32_e32 v1, s6
	v_add_co_u32_e32 v35, vcc, s1, v25
	v_addc_co_u32_e32 v36, vcc, 0, v1, vcc
	s_add_u32 s0, s1, 12
	v_mad_u64_u32 v[33:34], s[2:3], s14, v25, 0
	v_mul_lo_u32 v3, s12, v43
	v_mov_b32_e32 v1, s10
	s_addc_u32 s1, s6, 0
	v_mov_b32_e32 v2, s11
	v_cmp_le_u64_e32 vcc, s[0:1], v[1:2]
	v_cmp_gt_u64_e64 s[0:1], s[10:11], v[35:36]
	v_add_lshl_u32 v1, v33, v3, 3
	s_or_b64 vcc, vcc, s[0:1]
	v_add_u32_e32 v34, 20, v43
	v_cndmask_b32_e32 v9, -1, v1, vcc
	v_mul_lo_u32 v1, s12, v34
	v_add_u32_e32 v2, 0x50, v43
	v_mul_lo_u32 v2, s12, v2
	v_add_u32_e32 v3, 0xc8, v43
	v_add_lshl_u32 v1, v33, v1, 3
	v_cndmask_b32_e32 v7, -1, v1, vcc
	v_add_lshl_u32 v1, v33, v2, 3
	v_add_u32_e32 v2, 0x8c, v43
	v_mul_lo_u32 v2, s12, v2
	v_mul_lo_u32 v3, s12, v3
	v_cndmask_b32_e32 v8, -1, v1, vcc
	s_lshl_b32 s6, s7, 3
	v_add_lshl_u32 v1, v33, v2, 3
	s_mov_b32 s11, 0x20000
	s_mov_b32 s10, -2
	v_cndmask_b32_e32 v10, -1, v1, vcc
	v_add_lshl_u32 v11, v33, v3, 3
	buffer_load_dwordx2 v[1:2], v7, s[8:11], s6 offen
	buffer_load_dwordx2 v[3:4], v8, s[8:11], s6 offen
	;; [unrolled: 1-line block ×3, first 2 shown]
	v_add_u32_e32 v47, 60, v43
	v_add_u32_e32 v10, 0x78, v43
	;; [unrolled: 1-line block ×3, first 2 shown]
	v_cndmask_b32_e32 v7, -1, v11, vcc
	v_mul_lo_u32 v11, s12, v47
	v_mul_lo_u32 v10, s12, v10
	;; [unrolled: 1-line block ×3, first 2 shown]
	v_add_u32_e32 v42, 40, v43
	v_mul_lo_u32 v18, s12, v42
	v_add_lshl_u32 v11, v33, v11, 3
	v_add_lshl_u32 v10, v33, v10, 3
	;; [unrolled: 1-line block ×3, first 2 shown]
	v_cndmask_b32_e32 v17, -1, v11, vcc
	v_cndmask_b32_e32 v11, -1, v10, vcc
	;; [unrolled: 1-line block ×3, first 2 shown]
	buffer_load_dwordx2 v[7:8], v7, s[8:11], s6 offen
	v_lshlrev_b32_e32 v46, 3, v25
	buffer_load_dwordx2 v[9:10], v9, s[8:11], s6 offen
	s_movk_i32 s0, 0xfee0
	buffer_load_dwordx2 v[11:12], v11, s[8:11], s6 offen
	s_nop 0
	buffer_load_dwordx2 v[13:14], v19, s[8:11], s6 offen
	buffer_load_dwordx2 v[15:16], v17, s[8:11], s6 offen
	v_add_lshl_u32 v17, v33, v18, 3
	v_add_u32_e32 v18, 0x64, v43
	v_mul_lo_u32 v18, s12, v18
	v_or_b32_e32 v19, 0xa0, v43
	v_mul_lo_u32 v19, s12, v19
	v_cndmask_b32_e32 v21, -1, v17, vcc
	v_add_lshl_u32 v17, v33, v18, 3
	v_add_u32_e32 v18, 0xdc, v43
	v_mul_lo_u32 v22, s12, v18
	v_cndmask_b32_e32 v26, -1, v17, vcc
	v_add_lshl_u32 v17, v33, v19, 3
	v_cndmask_b32_e32 v23, -1, v17, vcc
	buffer_load_dwordx2 v[17:18], v21, s[8:11], s6 offen
	buffer_load_dwordx2 v[19:20], v23, s[8:11], s6 offen
	v_add_lshl_u32 v21, v33, v22, 3
	v_cndmask_b32_e32 v27, -1, v21, vcc
	buffer_load_dwordx2 v[21:22], v27, s[8:11], s6 offen
	buffer_load_dwordx2 v[23:24], v26, s[8:11], s6 offen
	v_mul_u32_u24_e32 v26, 48, v43
	v_lshl_add_u32 v26, v26, 3, 0
	v_add_u32_e32 v25, v26, v46
	v_mad_i32_i24 v45, v43, s0, v25
	s_movk_i32 s0, 0x1e00
	s_waitcnt vmcnt(9)
	v_sub_f32_e32 v5, v1, v5
	v_sub_f32_e32 v6, v2, v6
	v_fma_f32 v27, v1, 2.0, -v5
	v_fma_f32 v28, v2, 2.0, -v6
	s_waitcnt vmcnt(8)
	v_sub_f32_e32 v7, v3, v7
	v_sub_f32_e32 v8, v4, v8
	v_fma_f32 v3, v3, 2.0, -v7
	v_fma_f32 v4, v4, 2.0, -v8
	v_add_f32_e32 v1, v5, v8
	v_sub_f32_e32 v2, v6, v7
	v_sub_f32_e32 v3, v27, v3
	;; [unrolled: 1-line block ×3, first 2 shown]
	v_add_u32_e32 v7, 0x1800, v25
	v_fma_f32 v5, v5, 2.0, -v1
	v_fma_f32 v6, v6, 2.0, -v2
	ds_write2_b64 v7, v[3:4], v[1:2] offset0:216 offset1:228
	v_fma_f32 v1, v27, 2.0, -v3
	v_fma_f32 v2, v28, 2.0, -v4
	ds_write2_b64 v7, v[1:2], v[5:6] offset0:192 offset1:204
	s_waitcnt vmcnt(6)
	v_sub_f32_e32 v7, v9, v11
	v_sub_f32_e32 v8, v10, v12
	s_waitcnt vmcnt(4)
	v_sub_f32_e32 v6, v15, v13
	v_sub_f32_e32 v5, v16, v14
	v_fma_f32 v3, v9, 2.0, -v7
	v_fma_f32 v4, v10, 2.0, -v8
	v_fma_f32 v1, v15, 2.0, -v6
	v_fma_f32 v2, v16, 2.0, -v5
	v_sub_f32_e32 v1, v3, v1
	v_sub_f32_e32 v2, v4, v2
	v_add_f32_e32 v5, v7, v5
	v_sub_f32_e32 v6, v8, v6
	v_fma_f32 v3, v3, 2.0, -v1
	v_fma_f32 v4, v4, 2.0, -v2
	;; [unrolled: 1-line block ×4, first 2 shown]
	ds_write2_b64 v25, v[3:4], v[7:8] offset1:12
	ds_write2_b64 v25, v[1:2], v[5:6] offset0:24 offset1:36
	s_waitcnt vmcnt(2)
	v_sub_f32_e32 v3, v17, v19
	s_waitcnt vmcnt(0)
	v_sub_f32_e32 v6, v23, v21
	v_sub_f32_e32 v7, v18, v20
	v_fma_f32 v1, v17, 2.0, -v3
	v_sub_f32_e32 v8, v24, v22
	v_fma_f32 v4, v23, 2.0, -v6
	v_fma_f32 v2, v18, 2.0, -v7
	;; [unrolled: 1-line block ×3, first 2 shown]
	v_sub_f32_e32 v36, v1, v4
	v_sub_f32_e32 v37, v2, v5
	v_fma_f32 v4, v1, 2.0, -v36
	v_add_f32_e32 v1, v3, v8
	v_fma_f32 v5, v2, 2.0, -v37
	v_sub_f32_e32 v2, v7, v6
	v_fma_f32 v6, v3, 2.0, -v1
	v_add_u32_e32 v3, 0x3c00, v26
	v_fma_f32 v7, v7, 2.0, -v2
	v_add_u32_e32 v8, v3, v46
	ds_write2_b64 v8, v[4:5], v[6:7] offset1:12
	ds_write2_b64 v8, v[36:37], v[1:2] offset0:24 offset1:36
	v_mul_i32_i24_e32 v4, 0xfffffee0, v34
	v_add3_u32 v44, v25, s0, v4
	s_waitcnt lgkmcnt(0)
	s_barrier
	v_add_u32_e32 v4, 0x2400, v45
	v_add_u32_e32 v5, 0x3600, v45
	;; [unrolled: 1-line block ×3, first 2 shown]
	ds_read_b64 v[38:39], v44
	ds_read_b64 v[40:41], v45 offset:6528
	ds_read2_b64 v[29:32], v4 offset1:240
	ds_read2_b64 v[25:28], v5 offset1:240
	;; [unrolled: 1-line block ×3, first 2 shown]
	ds_read2st64_b64 v[17:20], v45 offset1:9
	s_movk_i32 s0, 0x60
	v_cmp_gt_u32_e64 s[0:1], s0, v0
                                        ; implicit-def: $vgpr8
	s_and_saveexec_b64 s[2:3], s[0:1]
	s_cbranch_execz .LBB0_8
; %bb.7:
	v_mul_i32_i24_e32 v1, 0xfffffee0, v42
	v_add3_u32 v1, v3, v1, v46
	v_add_u32_e32 v5, 0x100, v45
	ds_read_b64 v[36:37], v1
	ds_read2st64_b64 v[1:4], v5 offset0:16 offset1:25
	ds_read2st64_b64 v[5:8], v5 offset0:34 offset1:43
.LBB0_8:
	s_or_b64 exec, exec, s[2:3]
	v_and_b32_e32 v48, 3, v43
	v_lshlrev_b32_e32 v49, 5, v48
	global_load_dwordx4 v[13:16], v49, s[16:17]
	global_load_dwordx4 v[9:12], v49, s[16:17] offset:16
	s_waitcnt vmcnt(0) lgkmcnt(0)
	s_barrier
	v_mul_f32_e32 v50, v16, v30
	v_mul_f32_e32 v51, v16, v29
	;; [unrolled: 1-line block ×4, first 2 shown]
	v_fmac_f32_e32 v50, v15, v29
	v_fma_f32 v29, v15, v30, -v51
	v_mul_f32_e32 v30, v10, v26
	v_mul_f32_e32 v51, v10, v28
	;; [unrolled: 1-line block ×3, first 2 shown]
	v_fmac_f32_e32 v52, v15, v31
	v_fma_f32 v32, v15, v32, -v53
	v_mul_f32_e32 v31, v10, v25
	v_mul_f32_e32 v53, v10, v27
	v_fmac_f32_e32 v30, v9, v25
	v_fmac_f32_e32 v51, v9, v27
	v_mul_f32_e32 v25, v12, v22
	v_mul_f32_e32 v27, v12, v23
	v_fma_f32 v31, v9, v26, -v31
	v_mul_f32_e32 v26, v12, v21
	v_mul_f32_e32 v54, v12, v24
	v_fmac_f32_e32 v25, v11, v21
	v_fma_f32 v55, v11, v24, -v27
	v_mul_f32_e32 v21, v14, v19
	v_fmac_f32_e32 v49, v13, v19
	v_mul_f32_e32 v24, v14, v40
	v_fma_f32 v53, v9, v28, -v53
	v_fma_f32 v28, v11, v22, -v26
	v_fmac_f32_e32 v54, v11, v23
	v_fma_f32 v23, v13, v20, -v21
	v_add_f32_e32 v19, v50, v30
	v_add_f32_e32 v21, v49, v25
	v_fma_f32 v57, v13, v41, -v24
	v_sub_f32_e32 v24, v49, v50
	v_sub_f32_e32 v26, v25, v30
	v_fma_f32 v19, -0.5, v19, v17
	v_fma_f32 v21, -0.5, v21, v17
	v_add_f32_e32 v17, v17, v49
	v_mul_f32_e32 v56, v14, v41
	v_add_f32_e32 v24, v24, v26
	v_sub_f32_e32 v26, v50, v49
	v_sub_f32_e32 v27, v30, v25
	v_add_f32_e32 v20, v29, v31
	v_add_f32_e32 v22, v23, v28
	v_fmac_f32_e32 v56, v13, v40
	v_add_f32_e32 v26, v26, v27
	v_sub_f32_e32 v27, v23, v29
	v_sub_f32_e32 v40, v28, v31
	v_add_f32_e32 v17, v17, v50
	v_fma_f32 v20, -0.5, v20, v18
	v_fma_f32 v22, -0.5, v22, v18
	v_add_f32_e32 v18, v18, v23
	v_add_f32_e32 v27, v27, v40
	v_sub_f32_e32 v40, v50, v30
	v_add_f32_e32 v17, v17, v30
	v_sub_f32_e32 v30, v49, v25
	v_sub_f32_e32 v41, v23, v28
	;; [unrolled: 1-line block ×3, first 2 shown]
	v_mov_b32_e32 v23, v19
	v_add_f32_e32 v18, v18, v29
	v_sub_f32_e32 v29, v29, v31
	v_fmac_f32_e32 v19, 0x3f737871, v41
	v_fmac_f32_e32 v23, 0xbf737871, v41
	v_add_f32_e32 v17, v17, v25
	v_mov_b32_e32 v25, v21
	v_fmac_f32_e32 v19, 0x3f167918, v29
	v_fmac_f32_e32 v23, 0xbf167918, v29
	;; [unrolled: 1-line block ×6, first 2 shown]
	v_mov_b32_e32 v24, v20
	v_fmac_f32_e32 v21, 0x3f167918, v41
	v_fmac_f32_e32 v25, 0xbf167918, v41
	;; [unrolled: 1-line block ×8, first 2 shown]
	v_mov_b32_e32 v26, v22
	v_fmac_f32_e32 v20, 0x3e9e377a, v27
	v_fmac_f32_e32 v24, 0x3e9e377a, v27
	;; [unrolled: 1-line block ×3, first 2 shown]
	v_sub_f32_e32 v27, v31, v28
	v_fmac_f32_e32 v22, 0x3f737871, v40
	v_fmac_f32_e32 v26, 0x3f167918, v30
	v_add_f32_e32 v27, v49, v27
	v_fmac_f32_e32 v22, 0xbf167918, v30
	v_fmac_f32_e32 v26, 0x3e9e377a, v27
	;; [unrolled: 1-line block ×3, first 2 shown]
	v_add_f32_e32 v27, v52, v51
	v_add_f32_e32 v18, v18, v31
	v_fma_f32 v27, -0.5, v27, v38
	v_sub_f32_e32 v29, v56, v52
	v_sub_f32_e32 v30, v54, v51
	v_add_f32_e32 v18, v18, v28
	v_sub_f32_e32 v28, v57, v55
	v_add_f32_e32 v30, v29, v30
	v_mov_b32_e32 v29, v27
	v_fmac_f32_e32 v29, 0xbf737871, v28
	v_sub_f32_e32 v40, v32, v53
	v_fmac_f32_e32 v27, 0x3f737871, v28
	v_fmac_f32_e32 v29, 0xbf167918, v40
	;; [unrolled: 1-line block ×3, first 2 shown]
	v_add_f32_e32 v31, v56, v54
	v_fmac_f32_e32 v29, 0x3e9e377a, v30
	v_fmac_f32_e32 v27, 0x3e9e377a, v30
	v_add_f32_e32 v30, v38, v56
	v_fma_f32 v38, -0.5, v31, v38
	v_sub_f32_e32 v31, v52, v56
	v_sub_f32_e32 v41, v51, v54
	v_add_f32_e32 v41, v31, v41
	v_mov_b32_e32 v31, v38
	v_fmac_f32_e32 v31, 0x3f737871, v40
	v_fmac_f32_e32 v38, 0xbf737871, v40
	;; [unrolled: 1-line block ×4, first 2 shown]
	v_add_f32_e32 v28, v30, v52
	v_add_f32_e32 v30, v39, v57
	;; [unrolled: 1-line block ×7, first 2 shown]
	v_fmac_f32_e32 v31, 0x3e9e377a, v41
	v_fmac_f32_e32 v38, 0x3e9e377a, v41
	v_add_f32_e32 v41, v30, v55
	v_fma_f32 v28, -0.5, v28, v39
	v_sub_f32_e32 v50, v52, v51
	v_sub_f32_e32 v30, v57, v32
	;; [unrolled: 1-line block ×4, first 2 shown]
	v_add_f32_e32 v51, v30, v51
	v_mov_b32_e32 v30, v28
	v_fmac_f32_e32 v30, 0x3f737871, v49
	v_fmac_f32_e32 v28, 0xbf737871, v49
	;; [unrolled: 1-line block ×6, first 2 shown]
	v_add_f32_e32 v51, v57, v55
	v_fmac_f32_e32 v39, -0.5, v51
	v_sub_f32_e32 v51, v32, v57
	v_mov_b32_e32 v32, v39
	v_fmac_f32_e32 v32, 0xbf737871, v50
	v_fmac_f32_e32 v39, 0x3f737871, v50
	v_fmac_f32_e32 v32, 0x3f167918, v49
	v_fmac_f32_e32 v39, 0xbf167918, v49
	v_lshrrev_b32_e32 v49, 2, v43
	v_mul_u32_u24_e32 v49, 20, v49
	v_or_b32_e32 v49, v49, v48
	v_mul_u32_u24_e32 v49, 0x60, v49
	v_add3_u32 v49, 0, v49, v46
	ds_write2_b64 v49, v[17:18], v[23:24] offset1:48
	ds_write2_b64 v49, v[25:26], v[21:22] offset0:96 offset1:144
	ds_write_b64 v49, v[19:20] offset:1536
	v_lshrrev_b32_e32 v17, 2, v34
	v_mul_u32_u24_e32 v17, 20, v17
	v_or_b32_e32 v17, v17, v48
	v_sub_f32_e32 v52, v53, v55
	v_mul_u32_u24_e32 v17, 0x60, v17
	v_add_f32_e32 v51, v51, v52
	v_add3_u32 v17, 0, v17, v46
	v_fmac_f32_e32 v32, 0x3e9e377a, v51
	v_fmac_f32_e32 v39, 0x3e9e377a, v51
	ds_write2_b64 v17, v[40:41], v[29:30] offset1:48
	ds_write2_b64 v17, v[31:32], v[38:39] offset0:96 offset1:144
	ds_write_b64 v17, v[27:28] offset:1536
	s_and_saveexec_b64 s[2:3], s[0:1]
	s_cbranch_execz .LBB0_10
; %bb.9:
	v_mul_f32_e32 v17, v7, v12
	v_fma_f32 v18, v8, v11, -v17
	v_mul_f32_e32 v17, v5, v10
	v_fma_f32 v19, v6, v9, -v17
	;; [unrolled: 2-line block ×3, first 2 shown]
	v_mul_f32_e32 v17, v1, v14
	v_mul_f32_e32 v14, v2, v14
	v_fma_f32 v21, v2, v13, -v17
	v_fmac_f32_e32 v14, v1, v13
	v_mul_f32_e32 v13, v4, v16
	v_add_f32_e32 v1, v36, v14
	v_fmac_f32_e32 v13, v3, v15
	v_mul_f32_e32 v10, v6, v10
	v_add_f32_e32 v1, v1, v13
	;; [unrolled: 3-line block ×3, first 2 shown]
	v_fmac_f32_e32 v5, v7, v11
	v_add_f32_e32 v16, v1, v5
	v_sub_f32_e32 v1, v20, v21
	v_sub_f32_e32 v2, v19, v18
	v_add_f32_e32 v1, v1, v2
	v_add_f32_e32 v2, v21, v18
	v_fma_f32 v2, -0.5, v2, v37
	v_sub_f32_e32 v3, v13, v10
	v_mov_b32_e32 v4, v2
	v_fmac_f32_e32 v4, 0x3f737871, v3
	v_sub_f32_e32 v7, v14, v5
	v_fmac_f32_e32 v2, 0xbf737871, v3
	v_fmac_f32_e32 v4, 0xbf167918, v7
	;; [unrolled: 1-line block ×5, first 2 shown]
	v_sub_f32_e32 v1, v21, v20
	v_sub_f32_e32 v6, v18, v19
	v_add_f32_e32 v1, v1, v6
	v_add_f32_e32 v6, v20, v19
	;; [unrolled: 1-line block ×3, first 2 shown]
	v_fmac_f32_e32 v37, -0.5, v6
	v_mov_b32_e32 v6, v37
	v_fmac_f32_e32 v6, 0xbf737871, v7
	v_fmac_f32_e32 v37, 0x3f737871, v7
	v_fmac_f32_e32 v6, 0xbf167918, v3
	v_fmac_f32_e32 v37, 0x3f167918, v3
	v_fmac_f32_e32 v6, 0x3e9e377a, v1
	v_fmac_f32_e32 v37, 0x3e9e377a, v1
	v_sub_f32_e32 v1, v13, v14
	v_sub_f32_e32 v3, v10, v5
	v_add_f32_e32 v7, v1, v3
	v_add_f32_e32 v1, v14, v5
	v_fma_f32 v1, -0.5, v1, v36
	v_sub_f32_e32 v9, v20, v19
	v_mov_b32_e32 v3, v1
	v_sub_f32_e32 v8, v21, v18
	v_fmac_f32_e32 v3, 0xbf737871, v9
	v_fmac_f32_e32 v1, 0x3f737871, v9
	;; [unrolled: 1-line block ×6, first 2 shown]
	v_sub_f32_e32 v7, v14, v13
	v_sub_f32_e32 v5, v5, v10
	v_add_f32_e32 v7, v7, v5
	v_add_f32_e32 v5, v13, v10
	v_fmac_f32_e32 v36, -0.5, v5
	v_mov_b32_e32 v5, v36
	v_fmac_f32_e32 v5, 0x3f737871, v8
	v_fmac_f32_e32 v36, 0xbf737871, v8
	;; [unrolled: 1-line block ×6, first 2 shown]
	v_lshrrev_b32_e32 v7, 2, v42
	v_mul_u32_u24_e32 v7, 20, v7
	v_add_f32_e32 v17, v17, v20
	v_or_b32_e32 v7, v7, v48
	v_add_f32_e32 v17, v17, v19
	v_mul_u32_u24_e32 v7, 0x60, v7
	v_add_f32_e32 v17, v17, v18
	v_add3_u32 v7, 0, v7, v46
	ds_write2_b64 v7, v[16:17], v[36:37] offset1:48
	ds_write2_b64 v7, v[1:2], v[3:4] offset0:96 offset1:144
	ds_write_b64 v7, v[5:6] offset:1536
.LBB0_10:
	s_or_b64 exec, exec, s[2:3]
	v_mul_lo_u16_e32 v1, 13, v34
	v_lshrrev_b16_e32 v36, 8, v1
	v_mul_lo_u16_e32 v2, 0x67, v42
	v_mul_lo_u16_e32 v1, 20, v36
	v_lshrrev_b16_e32 v38, 11, v2
	v_sub_u16_e32 v1, v34, v1
	v_mul_lo_u16_e32 v5, 20, v38
	v_and_b32_e32 v37, 0xff, v1
	v_sub_u16_e32 v5, v42, v5
	v_lshlrev_b32_e32 v1, 4, v37
	v_and_b32_e32 v39, 0xff, v5
	s_waitcnt lgkmcnt(0)
	s_barrier
	global_load_dwordx4 v[1:4], v1, s[16:17] offset:128
	v_lshlrev_b32_e32 v5, 4, v39
	global_load_dwordx4 v[5:8], v5, s[16:17] offset:128
	v_mul_lo_u16_e32 v9, 13, v43
	v_lshrrev_b16_e32 v40, 8, v9
	v_mul_lo_u16_e32 v13, 0x67, v47
	v_mul_lo_u16_e32 v9, 20, v40
	v_lshrrev_b16_e32 v48, 11, v13
	v_sub_u16_e32 v9, v43, v9
	v_mul_lo_u16_e32 v13, 20, v48
	v_and_b32_e32 v41, 0xff, v9
	v_sub_u16_e32 v13, v47, v13
	v_lshlrev_b32_e32 v9, 4, v41
	v_and_b32_e32 v47, 0xff, v13
	global_load_dwordx4 v[9:12], v9, s[16:17] offset:128
	v_lshlrev_b32_e32 v13, 4, v47
	global_load_dwordx4 v[13:16], v13, s[16:17] offset:128
	v_add_u32_e32 v53, 0x2580, v45
	ds_read2_b64 v[21:24], v53 offset1:240
	v_add_u32_e32 v54, 0x4380, v45
	ds_read2st64_b64 v[17:20], v45 offset1:15
	ds_read2_b64 v[25:28], v54 offset1:240
	ds_read_b64 v[29:30], v44
	ds_read_b64 v[31:32], v45 offset:21120
	v_add_u32_e32 v52, 0x3480, v45
	v_mul_u32_u24_e32 v49, 0x60, v42
	s_movk_i32 s0, 0x2d0
	v_cmp_gt_u32_e64 s[0:1], s0, v0
	s_movk_i32 s2, 0xb4
	s_waitcnt vmcnt(3) lgkmcnt(4)
	v_mul_f32_e32 v50, v2, v22
	v_mul_f32_e32 v2, v2, v21
	s_waitcnt lgkmcnt(2)
	v_mul_f32_e32 v51, v4, v26
	v_mul_f32_e32 v4, v4, v25
	s_waitcnt vmcnt(2)
	v_mul_f32_e32 v55, v24, v6
	v_fmac_f32_e32 v50, v1, v21
	v_fma_f32 v21, v1, v22, -v2
	v_mul_f32_e32 v1, v23, v6
	v_fmac_f32_e32 v51, v3, v25
	v_fma_f32 v22, v3, v26, -v4
	v_fmac_f32_e32 v55, v23, v5
	v_fma_f32 v23, v24, v5, -v1
	ds_read2_b64 v[1:4], v52 offset1:240
	v_mul_f32_e32 v25, v28, v8
	v_mul_f32_e32 v5, v27, v8
	v_fmac_f32_e32 v25, v27, v7
	v_fma_f32 v26, v28, v7, -v5
	s_waitcnt vmcnt(1)
	v_mul_f32_e32 v27, v10, v20
	v_mul_f32_e32 v10, v10, v19
	s_waitcnt lgkmcnt(0)
	v_mul_f32_e32 v28, v12, v4
	v_mul_f32_e32 v12, v12, v3
	v_fmac_f32_e32 v27, v9, v19
	v_fma_f32 v9, v9, v20, -v10
	v_fmac_f32_e32 v28, v11, v3
	v_fma_f32 v4, v11, v4, -v12
	s_waitcnt vmcnt(0)
	v_mul_f32_e32 v3, v1, v14
	v_mul_f32_e32 v56, v32, v16
	;; [unrolled: 1-line block ×3, first 2 shown]
	v_add3_u32 v24, 0, v49, v46
	v_mul_f32_e32 v49, v2, v14
	v_fma_f32 v57, v2, v13, -v3
	v_fmac_f32_e32 v56, v31, v15
	v_fma_f32 v31, v32, v15, -v10
	v_add_f32_e32 v2, v27, v28
	v_sub_f32_e32 v11, v9, v4
	v_add_f32_e32 v10, v18, v9
	v_add_f32_e32 v9, v9, v4
	v_fma_f32 v3, -0.5, v2, v17
	v_add_f32_e32 v2, v10, v4
	v_fma_f32 v4, -0.5, v9, v18
	v_sub_f32_e32 v12, v27, v28
	v_mov_b32_e32 v10, v4
	ds_read2_b64 v[5:8], v24 offset1:240
	v_fmac_f32_e32 v4, 0xbf5db3d7, v12
	v_fmac_f32_e32 v10, 0x3f5db3d7, v12
	v_add_f32_e32 v12, v50, v51
	v_fmac_f32_e32 v49, v1, v13
	v_add_f32_e32 v13, v29, v50
	v_mov_b32_e32 v9, v3
	v_fma_f32 v29, -0.5, v12, v29
	v_fmac_f32_e32 v3, 0x3f5db3d7, v11
	v_fmac_f32_e32 v9, 0xbf5db3d7, v11
	v_add_f32_e32 v11, v13, v51
	v_sub_f32_e32 v12, v21, v22
	v_mov_b32_e32 v13, v29
	v_add_f32_e32 v14, v21, v22
	v_fmac_f32_e32 v13, 0xbf5db3d7, v12
	v_fmac_f32_e32 v29, 0x3f5db3d7, v12
	v_add_f32_e32 v12, v30, v21
	v_fmac_f32_e32 v30, -0.5, v14
	v_sub_f32_e32 v15, v50, v51
	v_mov_b32_e32 v14, v30
	v_add_f32_e32 v16, v55, v25
	v_fmac_f32_e32 v14, 0x3f5db3d7, v15
	v_fmac_f32_e32 v30, 0xbf5db3d7, v15
	s_waitcnt lgkmcnt(0)
	v_add_f32_e32 v15, v5, v55
	v_fma_f32 v5, -0.5, v16, v5
	v_add_f32_e32 v1, v17, v27
	v_sub_f32_e32 v16, v23, v26
	v_mov_b32_e32 v17, v5
	v_add_f32_e32 v18, v23, v26
	v_fmac_f32_e32 v17, 0xbf5db3d7, v16
	v_fmac_f32_e32 v5, 0x3f5db3d7, v16
	v_add_f32_e32 v16, v6, v23
	v_fma_f32 v6, -0.5, v18, v6
	v_sub_f32_e32 v19, v55, v25
	v_mov_b32_e32 v18, v6
	v_add_f32_e32 v20, v49, v56
	v_fmac_f32_e32 v18, 0x3f5db3d7, v19
	v_fmac_f32_e32 v6, 0xbf5db3d7, v19
	v_add_f32_e32 v19, v7, v49
	v_fma_f32 v7, -0.5, v20, v7
	v_add_f32_e32 v12, v12, v22
	v_sub_f32_e32 v20, v57, v31
	v_mov_b32_e32 v21, v7
	v_add_f32_e32 v22, v57, v31
	v_fmac_f32_e32 v21, 0xbf5db3d7, v20
	v_fmac_f32_e32 v7, 0x3f5db3d7, v20
	v_add_f32_e32 v20, v8, v57
	v_fmac_f32_e32 v8, -0.5, v22
	v_sub_f32_e32 v23, v49, v56
	v_mov_b32_e32 v22, v8
	v_fmac_f32_e32 v22, 0x3f5db3d7, v23
	v_fmac_f32_e32 v8, 0xbf5db3d7, v23
	v_mad_u32_u24 v23, v40, 60, v41
	v_mul_u32_u24_e32 v23, 0x60, v23
	v_add_f32_e32 v1, v1, v28
	v_add3_u32 v23, 0, v23, v46
	s_barrier
	ds_write2_b64 v23, v[1:2], v[9:10] offset1:240
	ds_write_b64 v23, v[3:4] offset:3840
	v_mad_u32_u24 v1, v36, 60, v37
	v_mul_u32_u24_e32 v1, 0x60, v1
	v_add3_u32 v1, 0, v1, v46
	ds_write2_b64 v1, v[11:12], v[13:14] offset1:240
	ds_write_b64 v1, v[29:30] offset:3840
	v_mad_u32_u24 v1, v38, 60, v39
	v_mul_u32_u24_e32 v1, 0x60, v1
	v_add_f32_e32 v15, v15, v25
	v_add_f32_e32 v16, v16, v26
	v_add3_u32 v1, 0, v1, v46
	ds_write2_b64 v1, v[15:16], v[17:18] offset1:240
	ds_write_b64 v1, v[5:6] offset:3840
	v_mad_u32_u24 v1, v48, 60, v47
	v_mul_u32_u24_e32 v1, 0x60, v1
	v_add_f32_e32 v19, v19, v56
	v_add_f32_e32 v20, v20, v31
	v_add3_u32 v1, 0, v1, v46
	ds_write2_b64 v1, v[19:20], v[21:22] offset1:240
	ds_write_b64 v1, v[7:8] offset:3840
	v_subrev_u32_e32 v1, 60, v43
	v_cndmask_b32_e64 v2, v1, v43, s[0:1]
	v_mul_i32_i24_e32 v7, 3, v2
	v_mov_b32_e32 v8, 0
	v_lshlrev_b64 v[3:4], 3, v[7:8]
	v_mov_b32_e32 v1, s17
	v_add_co_u32_e64 v9, s[0:1], s16, v3
	v_addc_co_u32_e64 v10, s[0:1], v1, v4, s[0:1]
	s_movk_i32 s0, 0x1e0
	v_subrev_u32_e32 v7, 40, v43
	v_cmp_gt_u32_e64 s[0:1], s0, v0
	v_cndmask_b32_e64 v43, v7, v34, s[0:1]
	v_mul_i32_i24_e32 v7, 3, v43
	v_lshlrev_b64 v[7:8], 3, v[7:8]
	s_waitcnt lgkmcnt(0)
	s_barrier
	global_load_dwordx2 v[31:32], v[9:10], off offset:464
	global_load_dwordx4 v[3:6], v[9:10], off offset:448
	v_add_co_u32_e64 v11, s[0:1], s16, v7
	v_addc_co_u32_e64 v12, s[0:1], v1, v8, s[0:1]
	v_mul_lo_u16_e32 v1, 0x89, v42
	v_lshrrev_b16_e32 v1, 13, v1
	global_load_dwordx2 v[40:41], v[11:12], off offset:464
	global_load_dwordx4 v[7:10], v[11:12], off offset:448
	v_mul_lo_u16_e32 v11, 60, v1
	v_sub_u16_e32 v11, v42, v11
	v_and_b32_e32 v55, 0xff, v11
	v_mul_u32_u24_e32 v11, 3, v55
	v_lshlrev_b32_e32 v15, 3, v11
	global_load_dwordx4 v[11:14], v15, s[16:17] offset:448
	global_load_dwordx2 v[46:47], v15, s[16:17] offset:464
	v_mul_lo_u32 v15, v35, v2
	s_load_dwordx2 s[0:1], s[4:5], 0x8
	v_mov_b32_e32 v56, 3
	v_mad_u32_u24 v1, v1, s2, v42
	v_lshlrev_b32_sdwa v16, v56, v15 dst_sel:DWORD dst_unused:UNUSED_PAD src0_sel:DWORD src1_sel:BYTE_0
	v_lshlrev_b32_sdwa v15, v56, v15 dst_sel:DWORD dst_unused:UNUSED_PAD src0_sel:DWORD src1_sel:BYTE_1
	s_waitcnt lgkmcnt(0)
	global_load_dwordx2 v[48:49], v16, s[0:1]
	global_load_dwordx2 v[50:51], v15, s[0:1] offset:2048
	ds_read2_b64 v[15:18], v24 offset1:240
	ds_read2st64_b64 v[19:22], v45 offset1:15
	ds_read2_b64 v[23:26], v53 offset1:240
	ds_read2_b64 v[27:30], v54 offset1:240
	;; [unrolled: 1-line block ×3, first 2 shown]
	s_waitcnt vmcnt(6) lgkmcnt(4)
	v_mul_f32_e32 v52, v4, v18
	v_mul_f32_e32 v4, v4, v17
	v_fmac_f32_e32 v52, v3, v17
	v_fma_f32 v53, v3, v18, -v4
	s_waitcnt lgkmcnt(2)
	v_mul_f32_e32 v54, v6, v26
	v_mul_f32_e32 v3, v6, v25
	v_fmac_f32_e32 v54, v5, v25
	v_fma_f32 v25, v5, v26, -v3
	s_waitcnt lgkmcnt(1)
	v_mul_f32_e32 v26, v32, v28
	v_mul_f32_e32 v3, v32, v27
	v_fmac_f32_e32 v26, v31, v27
	v_fma_f32 v27, v31, v28, -v3
	s_waitcnt vmcnt(5)
	v_mul_f32_e32 v32, v30, v41
	v_mul_f32_e32 v3, v29, v41
	v_fmac_f32_e32 v32, v29, v40
	v_fma_f32 v29, v30, v40, -v3
	v_add_u32_e32 v3, 60, v2
	v_mul_lo_u32 v3, v35, v3
	s_waitcnt vmcnt(3)
	v_mul_f32_e32 v40, v24, v12
	v_mul_f32_e32 v4, v23, v12
	v_fmac_f32_e32 v40, v23, v11
	v_fma_f32 v41, v24, v11, -v4
	v_lshlrev_b32_sdwa v11, v56, v3 dst_sel:DWORD dst_unused:UNUSED_PAD src0_sel:DWORD src1_sel:BYTE_0
	v_lshlrev_b32_sdwa v12, v56, v3 dst_sel:DWORD dst_unused:UNUSED_PAD src0_sel:DWORD src1_sel:BYTE_1
	global_load_dwordx2 v[3:4], v11, s[0:1]
	global_load_dwordx2 v[5:6], v12, s[0:1] offset:2048
	v_add_u32_e32 v11, 0x78, v2
	v_mul_lo_u32 v11, v35, v11
	s_waitcnt lgkmcnt(0)
	v_mul_f32_e32 v30, v39, v14
	v_mul_f32_e32 v12, v38, v14
	v_fmac_f32_e32 v30, v38, v13
	v_fma_f32 v38, v39, v13, -v12
	v_lshlrev_b32_sdwa v13, v56, v11 dst_sel:DWORD dst_unused:UNUSED_PAD src0_sel:DWORD src1_sel:BYTE_0
	v_lshlrev_b32_sdwa v14, v56, v11 dst_sel:DWORD dst_unused:UNUSED_PAD src0_sel:DWORD src1_sel:BYTE_1
	v_add_u32_e32 v11, 0xb4, v2
	v_mul_f32_e32 v31, v10, v37
	v_mul_lo_u32 v17, v35, v11
	v_mul_f32_e32 v10, v10, v36
	v_fmac_f32_e32 v31, v9, v36
	v_fma_f32 v36, v9, v37, -v10
	global_load_dwordx2 v[9:10], v13, s[0:1]
	global_load_dwordx2 v[11:12], v14, s[0:1] offset:2048
	ds_read_b64 v[13:14], v45 offset:21120
	v_mul_f32_e32 v28, v8, v22
	v_lshlrev_b32_sdwa v23, v56, v17 dst_sel:DWORD dst_unused:UNUSED_PAD src0_sel:DWORD src1_sel:BYTE_0
	v_mul_f32_e32 v8, v8, v21
	v_fmac_f32_e32 v28, v7, v21
	v_lshlrev_b32_sdwa v24, v56, v17 dst_sel:DWORD dst_unused:UNUSED_PAD src0_sel:DWORD src1_sel:BYTE_1
	v_fma_f32 v37, v7, v22, -v8
	global_load_dwordx2 v[7:8], v23, s[0:1]
	global_load_dwordx2 v[17:18], v24, s[0:1] offset:2048
	s_waitcnt vmcnt(8) lgkmcnt(0)
	v_mul_f32_e32 v39, v14, v47
	v_fmac_f32_e32 v39, v13, v46
	v_mul_f32_e32 v13, v13, v47
	ds_read_b64 v[21:22], v44
	v_fma_f32 v44, v14, v46, -v13
	v_mul_lo_u32 v13, v35, v43
	v_sub_f32_e32 v25, v20, v25
	v_sub_f32_e32 v26, v52, v26
	;; [unrolled: 1-line block ×3, first 2 shown]
	v_lshlrev_b32_sdwa v45, v56, v13 dst_sel:DWORD dst_unused:UNUSED_PAD src0_sel:DWORD src1_sel:BYTE_0
	v_lshlrev_b32_sdwa v46, v56, v13 dst_sel:DWORD dst_unused:UNUSED_PAD src0_sel:DWORD src1_sel:BYTE_1
	s_waitcnt vmcnt(6)
	v_mul_f32_e32 v13, v49, v51
	v_fma_f32 v47, v48, v50, -v13
	global_load_dwordx2 v[13:14], v45, s[0:1]
	global_load_dwordx2 v[23:24], v46, s[0:1] offset:2048
	v_add_u32_e32 v46, 60, v43
	v_mul_lo_u32 v46, v35, v46
	v_mul_f32_e32 v48, v48, v51
	v_sub_f32_e32 v45, v19, v54
	v_sub_f32_e32 v51, v15, v30
	v_lshlrev_b32_sdwa v30, v56, v46 dst_sel:DWORD dst_unused:UNUSED_PAD src0_sel:DWORD src1_sel:BYTE_0
	v_sub_f32_e32 v54, v16, v38
	v_fmac_f32_e32 v48, v49, v50
	v_fma_f32 v49, v19, 2.0, -v45
	v_fma_f32 v50, v20, 2.0, -v25
	v_lshlrev_b32_sdwa v46, v56, v46 dst_sel:DWORD dst_unused:UNUSED_PAD src0_sel:DWORD src1_sel:BYTE_1
	v_fma_f32 v57, v15, 2.0, -v51
	v_fma_f32 v58, v16, 2.0, -v54
	global_load_dwordx2 v[15:16], v30, s[0:1]
	global_load_dwordx2 v[19:20], v46, s[0:1] offset:2048
	v_fma_f32 v30, v52, 2.0, -v26
	v_fma_f32 v38, v53, 2.0, -v27
	v_sub_f32_e32 v30, v49, v30
	v_sub_f32_e32 v38, v50, v38
	v_fma_f32 v46, v49, 2.0, -v30
	v_fma_f32 v49, v50, 2.0, -v38
	s_waitcnt lgkmcnt(0)
	v_sub_f32_e32 v50, v21, v31
	v_sub_f32_e32 v32, v28, v32
	v_fma_f32 v21, v21, 2.0, -v50
	v_fma_f32 v28, v28, 2.0, -v32
	v_add_f32_e32 v27, v45, v27
	v_sub_f32_e32 v26, v25, v26
	v_sub_f32_e32 v59, v21, v28
	v_fma_f32 v45, v45, 2.0, -v27
	v_fma_f32 v25, v25, 2.0, -v26
	v_sub_f32_e32 v52, v22, v36
	v_sub_f32_e32 v53, v37, v29
	v_fma_f32 v22, v22, 2.0, -v52
	v_fma_f32 v29, v37, 2.0, -v53
	v_sub_f32_e32 v60, v22, v29
	v_fma_f32 v36, v21, 2.0, -v59
	v_fma_f32 v61, v22, 2.0, -v60
	v_mul_f32_e32 v21, v49, v48
	v_mul_f32_e32 v22, v46, v48
	v_fmac_f32_e32 v21, v46, v47
	v_fma_f32 v22, v49, v47, -v22
	v_add_u32_e32 v47, 0xb4, v55
	s_waitcnt vmcnt(8)
	v_mul_f32_e32 v28, v4, v6
	v_mul_f32_e32 v6, v3, v6
	v_fma_f32 v28, v3, v5, -v28
	v_fmac_f32_e32 v6, v4, v5
	v_mul_f32_e32 v3, v25, v6
	v_mul_f32_e32 v4, v45, v6
	v_fma_f32 v4, v25, v28, -v4
	v_fmac_f32_e32 v3, v45, v28
	s_waitcnt vmcnt(6)
	v_mul_f32_e32 v5, v10, v12
	v_fma_f32 v6, v9, v11, -v5
	v_mul_f32_e32 v9, v9, v12
	v_fmac_f32_e32 v9, v10, v11
	v_mul_f32_e32 v5, v38, v9
	v_mul_f32_e32 v9, v30, v9
	v_fmac_f32_e32 v5, v30, v6
	v_fma_f32 v6, v38, v6, -v9
	s_waitcnt vmcnt(4)
	v_mul_f32_e32 v9, v8, v18
	v_fma_f32 v25, v7, v17, -v9
	v_mul_f32_e32 v18, v7, v18
	v_add_u32_e32 v7, 0x78, v43
	v_mul_lo_u32 v9, v35, v7
	v_fmac_f32_e32 v18, v8, v17
	v_mul_f32_e32 v7, v26, v18
	v_fmac_f32_e32 v7, v27, v25
	v_lshlrev_b32_sdwa v8, v56, v9 dst_sel:DWORD dst_unused:UNUSED_PAD src0_sel:DWORD src1_sel:BYTE_0
	v_lshlrev_b32_sdwa v17, v56, v9 dst_sel:DWORD dst_unused:UNUSED_PAD src0_sel:DWORD src1_sel:BYTE_1
	v_add_u32_e32 v9, 0xb4, v43
	v_mul_lo_u32 v28, v35, v9
	global_load_dwordx2 v[9:10], v8, s[0:1]
	global_load_dwordx2 v[11:12], v17, s[0:1] offset:2048
	v_mul_f32_e32 v8, v27, v18
	s_waitcnt vmcnt(4)
	v_mul_f32_e32 v27, v14, v24
	v_fma_f32 v43, v13, v23, -v27
	v_add_u32_e32 v27, 60, v55
	v_mul_lo_u32 v30, v35, v55
	v_mul_lo_u32 v31, v35, v27
	v_lshlrev_b32_sdwa v29, v56, v28 dst_sel:DWORD dst_unused:UNUSED_PAD src0_sel:DWORD src1_sel:BYTE_0
	v_fma_f32 v8, v26, v25, -v8
	v_lshlrev_b32_sdwa v28, v56, v28 dst_sel:DWORD dst_unused:UNUSED_PAD src0_sel:DWORD src1_sel:BYTE_1
	global_load_dwordx2 v[17:18], v29, s[0:1]
	global_load_dwordx2 v[25:26], v28, s[0:1] offset:2048
	v_mul_f32_e32 v37, v13, v24
	v_lshlrev_b32_sdwa v13, v56, v30 dst_sel:DWORD dst_unused:UNUSED_PAD src0_sel:DWORD src1_sel:BYTE_0
	v_lshlrev_b32_sdwa v24, v56, v30 dst_sel:DWORD dst_unused:UNUSED_PAD src0_sel:DWORD src1_sel:BYTE_1
	v_lshlrev_b32_sdwa v45, v56, v31 dst_sel:DWORD dst_unused:UNUSED_PAD src0_sel:DWORD src1_sel:BYTE_0
	v_lshlrev_b32_sdwa v31, v56, v31 dst_sel:DWORD dst_unused:UNUSED_PAD src0_sel:DWORD src1_sel:BYTE_1
	global_load_dwordx2 v[27:28], v13, s[0:1]
	global_load_dwordx2 v[29:30], v24, s[0:1] offset:2048
	v_fmac_f32_e32 v37, v14, v23
	global_load_dwordx2 v[13:14], v45, s[0:1]
	global_load_dwordx2 v[23:24], v31, s[0:1] offset:2048
	v_add_u32_e32 v31, 0x78, v55
	v_mul_lo_u32 v31, v35, v31
	s_waitcnt vmcnt(8)
	v_mul_f32_e32 v38, v16, v20
	v_mul_lo_u32 v35, v35, v47
	v_fma_f32 v45, v15, v19, -v38
	v_mul_f32_e32 v46, v15, v20
	v_lshlrev_b32_sdwa v38, v56, v31 dst_sel:DWORD dst_unused:UNUSED_PAD src0_sel:DWORD src1_sel:BYTE_0
	v_fmac_f32_e32 v46, v16, v19
	v_lshlrev_b32_sdwa v31, v56, v31 dst_sel:DWORD dst_unused:UNUSED_PAD src0_sel:DWORD src1_sel:BYTE_1
	global_load_dwordx2 v[15:16], v38, s[0:1]
	global_load_dwordx2 v[19:20], v31, s[0:1] offset:2048
	v_mul_f32_e32 v31, v61, v37
	v_lshlrev_b32_sdwa v48, v56, v35 dst_sel:DWORD dst_unused:UNUSED_PAD src0_sel:DWORD src1_sel:BYTE_0
	v_fmac_f32_e32 v31, v36, v43
	v_mul_f32_e32 v47, v36, v37
	v_lshlrev_b32_sdwa v49, v56, v35 dst_sel:DWORD dst_unused:UNUSED_PAD src0_sel:DWORD src1_sel:BYTE_1
	global_load_dwordx2 v[35:36], v48, s[0:1]
	global_load_dwordx2 v[37:38], v49, s[0:1] offset:2048
	v_sub_f32_e32 v49, v52, v32
	v_sub_f32_e32 v32, v40, v39
	v_fma_f32 v40, v40, 2.0, -v32
	v_sub_f32_e32 v39, v41, v44
	v_sub_f32_e32 v44, v57, v40
	v_add_f32_e32 v48, v50, v53
	v_fma_f32 v53, v57, 2.0, -v44
	v_sub_f32_e32 v57, v54, v32
	v_fma_f32 v32, v61, v43, -v47
	v_fma_f32 v41, v41, 2.0, -v39
	v_sub_f32_e32 v41, v58, v41
	v_fma_f32 v55, v58, 2.0, -v41
	v_add_f32_e32 v56, v51, v39
	v_fma_f32 v51, v51, 2.0, -v56
	v_fma_f32 v54, v54, 2.0, -v57
	s_movk_i32 s0, 0x2cf
	v_cmp_lt_u32_e64 s[0:1], s0, v0
	v_fma_f32 v50, v50, 2.0, -v48
	v_fma_f32 v52, v52, 2.0, -v49
	v_mul_f32_e32 v39, v52, v46
	v_mul_f32_e32 v40, v50, v46
	v_fmac_f32_e32 v39, v50, v45
	v_fma_f32 v40, v52, v45, -v40
	s_waitcnt vmcnt(10)
	v_mul_f32_e32 v43, v10, v12
	v_mul_f32_e32 v12, v9, v12
	v_fma_f32 v43, v9, v11, -v43
	v_fmac_f32_e32 v12, v10, v11
	v_mul_f32_e32 v9, v60, v12
	v_mul_f32_e32 v10, v59, v12
	v_fmac_f32_e32 v9, v59, v43
	v_fma_f32 v10, v60, v43, -v10
	s_waitcnt vmcnt(8)
	v_mul_f32_e32 v11, v18, v26
	v_fma_f32 v12, v17, v25, -v11
	v_mul_f32_e32 v17, v17, v26
	v_fmac_f32_e32 v17, v18, v25
	v_mul_f32_e32 v11, v49, v17
	v_mul_f32_e32 v17, v48, v17
	s_waitcnt vmcnt(6)
	v_mul_f32_e32 v25, v27, v30
	v_fmac_f32_e32 v11, v48, v12
	v_fma_f32 v12, v49, v12, -v17
	v_mul_f32_e32 v17, v28, v30
	v_fmac_f32_e32 v25, v28, v29
	v_fma_f32 v18, v27, v29, -v17
	v_mul_f32_e32 v17, v55, v25
	v_mul_f32_e32 v25, v53, v25
	v_fmac_f32_e32 v17, v53, v18
	v_fma_f32 v18, v55, v18, -v25
	s_waitcnt vmcnt(4)
	v_mul_f32_e32 v25, v14, v24
	v_mul_f32_e32 v24, v13, v24
	v_fmac_f32_e32 v24, v14, v23
	v_fma_f32 v25, v13, v23, -v25
	v_mul_f32_e32 v13, v54, v24
	v_mul_f32_e32 v14, v51, v24
	v_mov_b32_e32 v24, 0xf0
	s_waitcnt vmcnt(2)
	v_mul_f32_e32 v23, v16, v20
	v_mul_f32_e32 v20, v15, v20
	v_cndmask_b32_e64 v24, 0, v24, s[0:1]
	v_fmac_f32_e32 v20, v16, v19
	v_add_u32_e32 v2, v2, v24
	v_fma_f32 v23, v15, v19, -v23
	v_mul_f32_e32 v15, v41, v20
	v_mul_f32_e32 v16, v44, v20
	v_mul_lo_u32 v24, s12, v2
	v_fmac_f32_e32 v15, v44, v23
	v_fma_f32 v16, v41, v23, -v16
	s_waitcnt vmcnt(0)
	v_mul_f32_e32 v23, v35, v38
	v_mul_f32_e32 v19, v36, v38
	v_fmac_f32_e32 v23, v36, v37
	v_fma_f32 v20, v35, v37, -v19
	v_mul_f32_e32 v19, v57, v23
	v_mul_f32_e32 v23, v56, v23
	v_fmac_f32_e32 v19, v56, v20
	v_fma_f32 v20, v57, v20, -v23
	v_add_lshl_u32 v23, v33, v24, 3
	v_add_u32_e32 v24, 60, v2
	v_cndmask_b32_e32 v23, -1, v23, vcc
	v_mul_lo_u32 v24, s12, v24
	buffer_store_dwordx2 v[21:22], v23, s[8:11], s6 offen
	v_add_u32_e32 v22, 0x78, v2
	v_mul_lo_u32 v22, s12, v22
	v_add_lshl_u32 v21, v33, v24, 3
	v_cndmask_b32_e32 v21, -1, v21, vcc
	buffer_store_dwordx2 v[3:4], v21, s[8:11], s6 offen
	v_add_lshl_u32 v3, v33, v22, 3
	v_cndmask_b32_e32 v3, -1, v3, vcc
	s_movk_i32 s0, 0x1df
	v_add_u32_e32 v2, 0xb4, v2
	buffer_store_dwordx2 v[5:6], v3, s[8:11], s6 offen
	v_mov_b32_e32 v3, 0xb4
	v_cmp_lt_u32_e64 s[0:1], s0, v0
	v_mul_lo_u32 v2, s12, v2
	v_cndmask_b32_e64 v0, 0, v3, s[0:1]
	v_add_u32_e32 v0, v34, v0
	v_mul_lo_u32 v3, s12, v0
	v_add_lshl_u32 v2, v33, v2, 3
	v_cndmask_b32_e32 v2, -1, v2, vcc
	buffer_store_dwordx2 v[7:8], v2, s[8:11], s6 offen
	v_add_u32_e32 v2, 60, v0
	v_add_lshl_u32 v3, v33, v3, 3
	v_mul_lo_u32 v2, s12, v2
	v_cndmask_b32_e32 v3, -1, v3, vcc
	buffer_store_dwordx2 v[31:32], v3, s[8:11], s6 offen
	v_add_u32_e32 v3, 0x78, v0
	v_add_u32_e32 v0, 0xb4, v0
	v_mul_lo_u32 v3, s12, v3
	v_mul_lo_u32 v0, s12, v0
	v_add_lshl_u32 v2, v33, v2, 3
	v_cndmask_b32_e32 v2, -1, v2, vcc
	buffer_store_dwordx2 v[39:40], v2, s[8:11], s6 offen
	v_add_lshl_u32 v2, v33, v3, 3
	v_add_lshl_u32 v0, v33, v0, 3
	v_cndmask_b32_e32 v2, -1, v2, vcc
	v_cndmask_b32_e32 v0, -1, v0, vcc
	buffer_store_dwordx2 v[9:10], v2, s[8:11], s6 offen
	buffer_store_dwordx2 v[11:12], v0, s[8:11], s6 offen
	v_add_u32_e32 v0, 60, v1
	v_mul_lo_u32 v2, s12, v1
	v_mul_lo_u32 v0, s12, v0
	v_fmac_f32_e32 v13, v51, v25
	v_fma_f32 v14, v54, v25, -v14
	v_add_lshl_u32 v2, v33, v2, 3
	v_add_lshl_u32 v0, v33, v0, 3
	v_cndmask_b32_e32 v2, -1, v2, vcc
	v_cndmask_b32_e32 v0, -1, v0, vcc
	buffer_store_dwordx2 v[17:18], v2, s[8:11], s6 offen
	v_add_u32_e32 v2, 0x78, v1
	buffer_store_dwordx2 v[13:14], v0, s[8:11], s6 offen
	v_add_u32_e32 v0, 0xb4, v1
	v_mul_lo_u32 v2, s12, v2
	v_mul_lo_u32 v0, s12, v0
	v_add_lshl_u32 v1, v33, v2, 3
	v_add_lshl_u32 v0, v33, v0, 3
	v_cndmask_b32_e32 v1, -1, v1, vcc
	v_cndmask_b32_e32 v0, -1, v0, vcc
	buffer_store_dwordx2 v[15:16], v1, s[8:11], s6 offen
	buffer_store_dwordx2 v[19:20], v0, s[8:11], s6 offen
	s_endpgm
	.section	.rodata,"a",@progbits
	.p2align	6, 0x0
	.amdhsa_kernel fft_rtc_back_len240_factors_4_5_3_4_wgs_240_tpt_20_dim3_sp_ip_CI_sbcc_twdbase8_2step_dirReg_intrinsicReadWrite
		.amdhsa_group_segment_fixed_size 0
		.amdhsa_private_segment_fixed_size 0
		.amdhsa_kernarg_size 88
		.amdhsa_user_sgpr_count 6
		.amdhsa_user_sgpr_private_segment_buffer 1
		.amdhsa_user_sgpr_dispatch_ptr 0
		.amdhsa_user_sgpr_queue_ptr 0
		.amdhsa_user_sgpr_kernarg_segment_ptr 1
		.amdhsa_user_sgpr_dispatch_id 0
		.amdhsa_user_sgpr_flat_scratch_init 0
		.amdhsa_user_sgpr_private_segment_size 0
		.amdhsa_uses_dynamic_stack 0
		.amdhsa_system_sgpr_private_segment_wavefront_offset 0
		.amdhsa_system_sgpr_workgroup_id_x 1
		.amdhsa_system_sgpr_workgroup_id_y 0
		.amdhsa_system_sgpr_workgroup_id_z 0
		.amdhsa_system_sgpr_workgroup_info 0
		.amdhsa_system_vgpr_workitem_id 0
		.amdhsa_next_free_vgpr 62
		.amdhsa_next_free_sgpr 28
		.amdhsa_reserve_vcc 1
		.amdhsa_reserve_flat_scratch 0
		.amdhsa_float_round_mode_32 0
		.amdhsa_float_round_mode_16_64 0
		.amdhsa_float_denorm_mode_32 3
		.amdhsa_float_denorm_mode_16_64 3
		.amdhsa_dx10_clamp 1
		.amdhsa_ieee_mode 1
		.amdhsa_fp16_overflow 0
		.amdhsa_exception_fp_ieee_invalid_op 0
		.amdhsa_exception_fp_denorm_src 0
		.amdhsa_exception_fp_ieee_div_zero 0
		.amdhsa_exception_fp_ieee_overflow 0
		.amdhsa_exception_fp_ieee_underflow 0
		.amdhsa_exception_fp_ieee_inexact 0
		.amdhsa_exception_int_div_zero 0
	.end_amdhsa_kernel
	.text
.Lfunc_end0:
	.size	fft_rtc_back_len240_factors_4_5_3_4_wgs_240_tpt_20_dim3_sp_ip_CI_sbcc_twdbase8_2step_dirReg_intrinsicReadWrite, .Lfunc_end0-fft_rtc_back_len240_factors_4_5_3_4_wgs_240_tpt_20_dim3_sp_ip_CI_sbcc_twdbase8_2step_dirReg_intrinsicReadWrite
                                        ; -- End function
	.section	.AMDGPU.csdata,"",@progbits
; Kernel info:
; codeLenInByte = 6636
; NumSgprs: 32
; NumVgprs: 62
; ScratchSize: 0
; MemoryBound: 0
; FloatMode: 240
; IeeeMode: 1
; LDSByteSize: 0 bytes/workgroup (compile time only)
; SGPRBlocks: 3
; VGPRBlocks: 15
; NumSGPRsForWavesPerEU: 32
; NumVGPRsForWavesPerEU: 62
; Occupancy: 4
; WaveLimiterHint : 0
; COMPUTE_PGM_RSRC2:SCRATCH_EN: 0
; COMPUTE_PGM_RSRC2:USER_SGPR: 6
; COMPUTE_PGM_RSRC2:TRAP_HANDLER: 0
; COMPUTE_PGM_RSRC2:TGID_X_EN: 1
; COMPUTE_PGM_RSRC2:TGID_Y_EN: 0
; COMPUTE_PGM_RSRC2:TGID_Z_EN: 0
; COMPUTE_PGM_RSRC2:TIDIG_COMP_CNT: 0
	.type	__hip_cuid_1cc7b53031b0ba6a,@object ; @__hip_cuid_1cc7b53031b0ba6a
	.section	.bss,"aw",@nobits
	.globl	__hip_cuid_1cc7b53031b0ba6a
__hip_cuid_1cc7b53031b0ba6a:
	.byte	0                               ; 0x0
	.size	__hip_cuid_1cc7b53031b0ba6a, 1

	.ident	"AMD clang version 19.0.0git (https://github.com/RadeonOpenCompute/llvm-project roc-6.4.0 25133 c7fe45cf4b819c5991fe208aaa96edf142730f1d)"
	.section	".note.GNU-stack","",@progbits
	.addrsig
	.addrsig_sym __hip_cuid_1cc7b53031b0ba6a
	.amdgpu_metadata
---
amdhsa.kernels:
  - .args:
      - .actual_access:  read_only
        .address_space:  global
        .offset:         0
        .size:           8
        .value_kind:     global_buffer
      - .address_space:  global
        .offset:         8
        .size:           8
        .value_kind:     global_buffer
      - .actual_access:  read_only
        .address_space:  global
        .offset:         16
        .size:           8
        .value_kind:     global_buffer
      - .actual_access:  read_only
        .address_space:  global
        .offset:         24
        .size:           8
        .value_kind:     global_buffer
      - .offset:         32
        .size:           8
        .value_kind:     by_value
      - .actual_access:  read_only
        .address_space:  global
        .offset:         40
        .size:           8
        .value_kind:     global_buffer
      - .actual_access:  read_only
        .address_space:  global
        .offset:         48
        .size:           8
        .value_kind:     global_buffer
      - .offset:         56
        .size:           4
        .value_kind:     by_value
      - .actual_access:  read_only
        .address_space:  global
        .offset:         64
        .size:           8
        .value_kind:     global_buffer
      - .actual_access:  read_only
        .address_space:  global
        .offset:         72
        .size:           8
        .value_kind:     global_buffer
      - .address_space:  global
        .offset:         80
        .size:           8
        .value_kind:     global_buffer
    .group_segment_fixed_size: 0
    .kernarg_segment_align: 8
    .kernarg_segment_size: 88
    .language:       OpenCL C
    .language_version:
      - 2
      - 0
    .max_flat_workgroup_size: 240
    .name:           fft_rtc_back_len240_factors_4_5_3_4_wgs_240_tpt_20_dim3_sp_ip_CI_sbcc_twdbase8_2step_dirReg_intrinsicReadWrite
    .private_segment_fixed_size: 0
    .sgpr_count:     32
    .sgpr_spill_count: 0
    .symbol:         fft_rtc_back_len240_factors_4_5_3_4_wgs_240_tpt_20_dim3_sp_ip_CI_sbcc_twdbase8_2step_dirReg_intrinsicReadWrite.kd
    .uniform_work_group_size: 1
    .uses_dynamic_stack: false
    .vgpr_count:     62
    .vgpr_spill_count: 0
    .wavefront_size: 64
amdhsa.target:   amdgcn-amd-amdhsa--gfx906
amdhsa.version:
  - 1
  - 2
...

	.end_amdgpu_metadata
